;; amdgpu-corpus repo=ROCm/rocFFT kind=compiled arch=gfx906 opt=O3
	.text
	.amdgcn_target "amdgcn-amd-amdhsa--gfx906"
	.amdhsa_code_object_version 6
	.protected	fft_rtc_fwd_len119_factors_17_7_wgs_255_tpt_17_halfLds_sp_ip_CI_sbrr_dirReg ; -- Begin function fft_rtc_fwd_len119_factors_17_7_wgs_255_tpt_17_halfLds_sp_ip_CI_sbrr_dirReg
	.globl	fft_rtc_fwd_len119_factors_17_7_wgs_255_tpt_17_halfLds_sp_ip_CI_sbrr_dirReg
	.p2align	8
	.type	fft_rtc_fwd_len119_factors_17_7_wgs_255_tpt_17_halfLds_sp_ip_CI_sbrr_dirReg,@function
fft_rtc_fwd_len119_factors_17_7_wgs_255_tpt_17_halfLds_sp_ip_CI_sbrr_dirReg: ; @fft_rtc_fwd_len119_factors_17_7_wgs_255_tpt_17_halfLds_sp_ip_CI_sbrr_dirReg
; %bb.0:
	s_load_dwordx2 s[14:15], s[4:5], 0x18
	s_load_dwordx4 s[8:11], s[4:5], 0x0
	s_load_dwordx2 s[12:13], s[4:5], 0x50
	v_mul_u32_u24_e32 v1, 0xf10, v0
	v_lshrrev_b32_e32 v1, 16, v1
	v_mad_u64_u32 v[37:38], s[0:1], s6, 15, v[1:2]
	s_waitcnt lgkmcnt(0)
	s_load_dwordx2 s[2:3], s[14:15], 0x0
	v_mov_b32_e32 v3, 0
	v_cmp_lt_u64_e64 s[0:1], s[10:11], 2
	v_mov_b32_e32 v38, v3
	v_mov_b32_e32 v1, 0
	;; [unrolled: 1-line block ×3, first 2 shown]
	s_and_b64 vcc, exec, s[0:1]
	v_mov_b32_e32 v2, 0
	v_mov_b32_e32 v8, v38
	s_cbranch_vccnz .LBB0_8
; %bb.1:
	s_load_dwordx2 s[0:1], s[4:5], 0x10
	s_add_u32 s6, s14, 8
	s_addc_u32 s7, s15, 0
	v_mov_b32_e32 v1, 0
	v_mov_b32_e32 v5, v37
	s_waitcnt lgkmcnt(0)
	s_add_u32 s18, s0, 8
	s_mov_b64 s[16:17], 1
	v_mov_b32_e32 v2, 0
	s_addc_u32 s19, s1, 0
	v_mov_b32_e32 v6, v38
.LBB0_2:                                ; =>This Inner Loop Header: Depth=1
	s_load_dwordx2 s[20:21], s[18:19], 0x0
                                        ; implicit-def: $vgpr7_vgpr8
	s_waitcnt lgkmcnt(0)
	v_or_b32_e32 v4, s21, v6
	v_cmp_ne_u64_e32 vcc, 0, v[3:4]
	s_and_saveexec_b64 s[0:1], vcc
	s_xor_b64 s[22:23], exec, s[0:1]
	s_cbranch_execz .LBB0_4
; %bb.3:                                ;   in Loop: Header=BB0_2 Depth=1
	v_cvt_f32_u32_e32 v4, s20
	v_cvt_f32_u32_e32 v7, s21
	s_sub_u32 s0, 0, s20
	s_subb_u32 s1, 0, s21
	v_mac_f32_e32 v4, 0x4f800000, v7
	v_rcp_f32_e32 v4, v4
	v_mul_f32_e32 v4, 0x5f7ffffc, v4
	v_mul_f32_e32 v7, 0x2f800000, v4
	v_trunc_f32_e32 v7, v7
	v_mac_f32_e32 v4, 0xcf800000, v7
	v_cvt_u32_f32_e32 v7, v7
	v_cvt_u32_f32_e32 v4, v4
	v_mul_lo_u32 v8, s0, v7
	v_mul_hi_u32 v9, s0, v4
	v_mul_lo_u32 v11, s1, v4
	v_mul_lo_u32 v10, s0, v4
	v_add_u32_e32 v8, v9, v8
	v_add_u32_e32 v8, v8, v11
	v_mul_hi_u32 v9, v4, v10
	v_mul_lo_u32 v11, v4, v8
	v_mul_hi_u32 v13, v4, v8
	v_mul_hi_u32 v12, v7, v10
	v_mul_lo_u32 v10, v7, v10
	v_mul_hi_u32 v14, v7, v8
	v_add_co_u32_e32 v9, vcc, v9, v11
	v_addc_co_u32_e32 v11, vcc, 0, v13, vcc
	v_mul_lo_u32 v8, v7, v8
	v_add_co_u32_e32 v9, vcc, v9, v10
	v_addc_co_u32_e32 v9, vcc, v11, v12, vcc
	v_addc_co_u32_e32 v10, vcc, 0, v14, vcc
	v_add_co_u32_e32 v8, vcc, v9, v8
	v_addc_co_u32_e32 v9, vcc, 0, v10, vcc
	v_add_co_u32_e32 v4, vcc, v4, v8
	v_addc_co_u32_e32 v7, vcc, v7, v9, vcc
	v_mul_lo_u32 v8, s0, v7
	v_mul_hi_u32 v9, s0, v4
	v_mul_lo_u32 v10, s1, v4
	v_mul_lo_u32 v11, s0, v4
	v_add_u32_e32 v8, v9, v8
	v_add_u32_e32 v8, v8, v10
	v_mul_lo_u32 v12, v4, v8
	v_mul_hi_u32 v13, v4, v11
	v_mul_hi_u32 v14, v4, v8
	;; [unrolled: 1-line block ×3, first 2 shown]
	v_mul_lo_u32 v11, v7, v11
	v_mul_hi_u32 v9, v7, v8
	v_add_co_u32_e32 v12, vcc, v13, v12
	v_addc_co_u32_e32 v13, vcc, 0, v14, vcc
	v_mul_lo_u32 v8, v7, v8
	v_add_co_u32_e32 v11, vcc, v12, v11
	v_addc_co_u32_e32 v10, vcc, v13, v10, vcc
	v_addc_co_u32_e32 v9, vcc, 0, v9, vcc
	v_add_co_u32_e32 v8, vcc, v10, v8
	v_addc_co_u32_e32 v9, vcc, 0, v9, vcc
	v_add_co_u32_e32 v4, vcc, v4, v8
	v_addc_co_u32_e32 v9, vcc, v7, v9, vcc
	v_mad_u64_u32 v[7:8], s[0:1], v5, v9, 0
	v_mul_hi_u32 v10, v5, v4
	v_add_co_u32_e32 v11, vcc, v10, v7
	v_addc_co_u32_e32 v12, vcc, 0, v8, vcc
	v_mad_u64_u32 v[7:8], s[0:1], v6, v4, 0
	v_mad_u64_u32 v[9:10], s[0:1], v6, v9, 0
	v_add_co_u32_e32 v4, vcc, v11, v7
	v_addc_co_u32_e32 v4, vcc, v12, v8, vcc
	v_addc_co_u32_e32 v7, vcc, 0, v10, vcc
	v_add_co_u32_e32 v4, vcc, v4, v9
	v_addc_co_u32_e32 v9, vcc, 0, v7, vcc
	v_mul_lo_u32 v10, s21, v4
	v_mul_lo_u32 v11, s20, v9
	v_mad_u64_u32 v[7:8], s[0:1], s20, v4, 0
	v_add3_u32 v8, v8, v11, v10
	v_sub_u32_e32 v10, v6, v8
	v_mov_b32_e32 v11, s21
	v_sub_co_u32_e32 v7, vcc, v5, v7
	v_subb_co_u32_e64 v10, s[0:1], v10, v11, vcc
	v_subrev_co_u32_e64 v11, s[0:1], s20, v7
	v_subbrev_co_u32_e64 v10, s[0:1], 0, v10, s[0:1]
	v_cmp_le_u32_e64 s[0:1], s21, v10
	v_cndmask_b32_e64 v12, 0, -1, s[0:1]
	v_cmp_le_u32_e64 s[0:1], s20, v11
	v_cndmask_b32_e64 v11, 0, -1, s[0:1]
	v_cmp_eq_u32_e64 s[0:1], s21, v10
	v_cndmask_b32_e64 v10, v12, v11, s[0:1]
	v_add_co_u32_e64 v11, s[0:1], 2, v4
	v_addc_co_u32_e64 v12, s[0:1], 0, v9, s[0:1]
	v_add_co_u32_e64 v13, s[0:1], 1, v4
	v_addc_co_u32_e64 v14, s[0:1], 0, v9, s[0:1]
	v_subb_co_u32_e32 v8, vcc, v6, v8, vcc
	v_cmp_ne_u32_e64 s[0:1], 0, v10
	v_cmp_le_u32_e32 vcc, s21, v8
	v_cndmask_b32_e64 v10, v14, v12, s[0:1]
	v_cndmask_b32_e64 v12, 0, -1, vcc
	v_cmp_le_u32_e32 vcc, s20, v7
	v_cndmask_b32_e64 v7, 0, -1, vcc
	v_cmp_eq_u32_e32 vcc, s21, v8
	v_cndmask_b32_e32 v7, v12, v7, vcc
	v_cmp_ne_u32_e32 vcc, 0, v7
	v_cndmask_b32_e64 v7, v13, v11, s[0:1]
	v_cndmask_b32_e32 v8, v9, v10, vcc
	v_cndmask_b32_e32 v7, v4, v7, vcc
.LBB0_4:                                ;   in Loop: Header=BB0_2 Depth=1
	s_andn2_saveexec_b64 s[0:1], s[22:23]
	s_cbranch_execz .LBB0_6
; %bb.5:                                ;   in Loop: Header=BB0_2 Depth=1
	v_cvt_f32_u32_e32 v4, s20
	s_sub_i32 s22, 0, s20
	v_rcp_iflag_f32_e32 v4, v4
	v_mul_f32_e32 v4, 0x4f7ffffe, v4
	v_cvt_u32_f32_e32 v4, v4
	v_mul_lo_u32 v7, s22, v4
	v_mul_hi_u32 v7, v4, v7
	v_add_u32_e32 v4, v4, v7
	v_mul_hi_u32 v4, v5, v4
	v_mul_lo_u32 v7, v4, s20
	v_add_u32_e32 v8, 1, v4
	v_sub_u32_e32 v7, v5, v7
	v_subrev_u32_e32 v9, s20, v7
	v_cmp_le_u32_e32 vcc, s20, v7
	v_cndmask_b32_e32 v7, v7, v9, vcc
	v_cndmask_b32_e32 v4, v4, v8, vcc
	v_add_u32_e32 v8, 1, v4
	v_cmp_le_u32_e32 vcc, s20, v7
	v_cndmask_b32_e32 v7, v4, v8, vcc
	v_mov_b32_e32 v8, v3
.LBB0_6:                                ;   in Loop: Header=BB0_2 Depth=1
	s_or_b64 exec, exec, s[0:1]
	v_mul_lo_u32 v4, v8, s20
	v_mul_lo_u32 v11, v7, s21
	v_mad_u64_u32 v[9:10], s[0:1], v7, s20, 0
	s_load_dwordx2 s[0:1], s[6:7], 0x0
	s_add_u32 s16, s16, 1
	v_add3_u32 v4, v10, v11, v4
	v_sub_co_u32_e32 v5, vcc, v5, v9
	v_subb_co_u32_e32 v4, vcc, v6, v4, vcc
	s_waitcnt lgkmcnt(0)
	v_mul_lo_u32 v4, s0, v4
	v_mul_lo_u32 v6, s1, v5
	v_mad_u64_u32 v[1:2], s[0:1], s0, v5, v[1:2]
	s_addc_u32 s17, s17, 0
	s_add_u32 s6, s6, 8
	v_add3_u32 v2, v6, v2, v4
	v_mov_b32_e32 v4, s10
	v_mov_b32_e32 v5, s11
	s_addc_u32 s7, s7, 0
	v_cmp_ge_u64_e32 vcc, s[16:17], v[4:5]
	s_add_u32 s18, s18, 8
	s_addc_u32 s19, s19, 0
	s_cbranch_vccnz .LBB0_8
; %bb.7:                                ;   in Loop: Header=BB0_2 Depth=1
	v_mov_b32_e32 v5, v7
	v_mov_b32_e32 v6, v8
	s_branch .LBB0_2
.LBB0_8:
	s_lshl_b64 s[0:1], s[10:11], 3
	s_add_u32 s0, s14, s0
	s_addc_u32 s1, s15, s1
	s_load_dwordx2 s[6:7], s[0:1], 0x0
	s_load_dwordx2 s[10:11], s[4:5], 0x20
	v_mov_b32_e32 v28, 0
	v_mov_b32_e32 v43, 0
	;; [unrolled: 1-line block ×3, first 2 shown]
	s_waitcnt lgkmcnt(0)
	v_mad_u64_u32 v[1:2], s[0:1], s6, v7, v[1:2]
	s_mov_b32 s0, 0xf0f0f10
	v_mul_lo_u32 v3, s6, v8
	v_mul_lo_u32 v4, s7, v7
	v_mul_hi_u32 v5, v0, s0
	v_cmp_gt_u64_e32 vcc, s[10:11], v[7:8]
                                        ; implicit-def: $vgpr34
                                        ; implicit-def: $vgpr30
                                        ; implicit-def: $vgpr26
                                        ; implicit-def: $vgpr22
                                        ; implicit-def: $vgpr18
                                        ; implicit-def: $vgpr14
                                        ; implicit-def: $vgpr10
                                        ; implicit-def: $vgpr6
                                        ; implicit-def: $vgpr36
                                        ; implicit-def: $vgpr32
                                        ; implicit-def: $vgpr24
                                        ; implicit-def: $vgpr20
                                        ; implicit-def: $vgpr16
                                        ; implicit-def: $vgpr12
                                        ; implicit-def: $vgpr8
	v_add3_u32 v2, v4, v2, v3
	v_mul_u32_u24_e32 v3, 17, v5
	v_sub_u32_e32 v0, v0, v3
                                        ; implicit-def: $vgpr4
	s_and_saveexec_b64 s[4:5], vcc
	s_cbranch_execz .LBB0_12
; %bb.9:
	v_cmp_gt_u32_e64 s[0:1], 7, v0
	v_mov_b32_e32 v27, 0
	v_mov_b32_e32 v28, 0
                                        ; implicit-def: $vgpr3
                                        ; implicit-def: $vgpr7
                                        ; implicit-def: $vgpr11
                                        ; implicit-def: $vgpr15
                                        ; implicit-def: $vgpr19
                                        ; implicit-def: $vgpr23
                                        ; implicit-def: $vgpr31
                                        ; implicit-def: $vgpr35
                                        ; implicit-def: $vgpr5
                                        ; implicit-def: $vgpr9
                                        ; implicit-def: $vgpr13
                                        ; implicit-def: $vgpr17
                                        ; implicit-def: $vgpr21
                                        ; implicit-def: $vgpr25
                                        ; implicit-def: $vgpr29
                                        ; implicit-def: $vgpr33
	s_and_saveexec_b64 s[6:7], s[0:1]
	s_cbranch_execz .LBB0_11
; %bb.10:
	v_mad_u64_u32 v[3:4], s[0:1], s2, v0, 0
	v_add_u32_e32 v10, 7, v0
	v_mad_u64_u32 v[7:8], s[0:1], s2, v10, 0
	v_mad_u64_u32 v[4:5], s[0:1], s3, v0, v[4:5]
	v_lshlrev_b64 v[5:6], 3, v[1:2]
	v_mov_b32_e32 v9, s13
	v_add_co_u32_e64 v11, s[0:1], s12, v5
	v_mov_b32_e32 v5, v8
	v_addc_co_u32_e64 v12, s[0:1], v9, v6, s[0:1]
	v_mad_u64_u32 v[5:6], s[0:1], s3, v10, v[5:6]
	v_add_u32_e32 v6, 14, v0
	v_mad_u64_u32 v[9:10], s[0:1], s2, v6, 0
	v_lshlrev_b64 v[3:4], 3, v[3:4]
	v_mov_b32_e32 v8, v5
	v_add_co_u32_e64 v31, s[0:1], v11, v3
	v_mov_b32_e32 v5, v10
	v_addc_co_u32_e64 v32, s[0:1], v12, v4, s[0:1]
	v_lshlrev_b64 v[3:4], 3, v[7:8]
	v_mad_u64_u32 v[5:6], s[0:1], s3, v6, v[5:6]
	v_add_u32_e32 v8, 21, v0
	v_mad_u64_u32 v[6:7], s[0:1], s2, v8, 0
	v_add_co_u32_e64 v35, s[0:1], v11, v3
	v_mov_b32_e32 v10, v5
	v_mov_b32_e32 v5, v7
	v_addc_co_u32_e64 v36, s[0:1], v12, v4, s[0:1]
	v_lshlrev_b64 v[3:4], 3, v[9:10]
	v_mad_u64_u32 v[7:8], s[0:1], s3, v8, v[5:6]
	v_add_u32_e32 v10, 28, v0
	v_mad_u64_u32 v[8:9], s[0:1], s2, v10, 0
	v_add_co_u32_e64 v38, s[0:1], v11, v3
	v_mov_b32_e32 v5, v9
	v_addc_co_u32_e64 v39, s[0:1], v12, v4, s[0:1]
	v_lshlrev_b64 v[3:4], 3, v[6:7]
	v_mad_u64_u32 v[5:6], s[0:1], s3, v10, v[5:6]
	v_add_u32_e32 v10, 35, v0
	v_mad_u64_u32 v[6:7], s[0:1], s2, v10, 0
	v_add_co_u32_e64 v40, s[0:1], v11, v3
	v_mov_b32_e32 v9, v5
	v_mov_b32_e32 v5, v7
	v_addc_co_u32_e64 v41, s[0:1], v12, v4, s[0:1]
	v_lshlrev_b64 v[3:4], 3, v[8:9]
	v_mad_u64_u32 v[7:8], s[0:1], s3, v10, v[5:6]
	v_add_u32_e32 v10, 42, v0
	v_mad_u64_u32 v[8:9], s[0:1], s2, v10, 0
	v_add_co_u32_e64 v42, s[0:1], v11, v3
	v_mov_b32_e32 v5, v9
	v_addc_co_u32_e64 v43, s[0:1], v12, v4, s[0:1]
	v_lshlrev_b64 v[3:4], 3, v[6:7]
	v_mad_u64_u32 v[5:6], s[0:1], s3, v10, v[5:6]
	v_add_u32_e32 v10, 49, v0
	v_mad_u64_u32 v[6:7], s[0:1], s2, v10, 0
	v_add_co_u32_e64 v44, s[0:1], v11, v3
	v_mov_b32_e32 v9, v5
	v_mov_b32_e32 v5, v7
	v_addc_co_u32_e64 v45, s[0:1], v12, v4, s[0:1]
	v_lshlrev_b64 v[3:4], 3, v[8:9]
	v_mad_u64_u32 v[7:8], s[0:1], s3, v10, v[5:6]
	v_or_b32_e32 v10, 56, v0
	v_mad_u64_u32 v[8:9], s[0:1], s2, v10, 0
	v_add_co_u32_e64 v46, s[0:1], v11, v3
	v_mov_b32_e32 v5, v9
	v_addc_co_u32_e64 v47, s[0:1], v12, v4, s[0:1]
	v_lshlrev_b64 v[3:4], 3, v[6:7]
	v_mad_u64_u32 v[5:6], s[0:1], s3, v10, v[5:6]
	v_add_u32_e32 v10, 63, v0
	v_mad_u64_u32 v[6:7], s[0:1], s2, v10, 0
	v_add_co_u32_e64 v48, s[0:1], v11, v3
	v_mov_b32_e32 v9, v5
	v_mov_b32_e32 v5, v7
	v_addc_co_u32_e64 v49, s[0:1], v12, v4, s[0:1]
	v_lshlrev_b64 v[3:4], 3, v[8:9]
	v_mad_u64_u32 v[7:8], s[0:1], s3, v10, v[5:6]
	v_add_u32_e32 v10, 0x46, v0
	v_mad_u64_u32 v[8:9], s[0:1], s2, v10, 0
	v_add_co_u32_e64 v50, s[0:1], v11, v3
	v_mov_b32_e32 v5, v9
	v_addc_co_u32_e64 v51, s[0:1], v12, v4, s[0:1]
	v_lshlrev_b64 v[3:4], 3, v[6:7]
	v_mad_u64_u32 v[5:6], s[0:1], s3, v10, v[5:6]
	v_add_u32_e32 v10, 0x4d, v0
	v_mad_u64_u32 v[6:7], s[0:1], s2, v10, 0
	v_add_co_u32_e64 v52, s[0:1], v11, v3
	v_mov_b32_e32 v9, v5
	v_mov_b32_e32 v5, v7
	v_addc_co_u32_e64 v53, s[0:1], v12, v4, s[0:1]
	v_lshlrev_b64 v[3:4], 3, v[8:9]
	v_mad_u64_u32 v[7:8], s[0:1], s3, v10, v[5:6]
	v_add_u32_e32 v10, 0x54, v0
	;; [unrolled: 15-line block ×3, first 2 shown]
	v_mad_u64_u32 v[8:9], s[0:1], s2, v10, 0
	v_add_co_u32_e64 v58, s[0:1], v11, v3
	v_mov_b32_e32 v5, v9
	v_addc_co_u32_e64 v59, s[0:1], v12, v4, s[0:1]
	v_lshlrev_b64 v[3:4], 3, v[6:7]
	v_mad_u64_u32 v[5:6], s[0:1], s3, v10, v[5:6]
	v_add_u32_e32 v10, 0x69, v0
	v_mad_u64_u32 v[6:7], s[0:1], s2, v10, 0
	v_add_co_u32_e64 v60, s[0:1], v11, v3
	v_mov_b32_e32 v9, v5
	v_mov_b32_e32 v5, v7
	v_addc_co_u32_e64 v61, s[0:1], v12, v4, s[0:1]
	v_lshlrev_b64 v[3:4], 3, v[8:9]
	v_mad_u64_u32 v[7:8], s[0:1], s3, v10, v[5:6]
	v_or_b32_e32 v10, 0x70, v0
	v_mad_u64_u32 v[8:9], s[0:1], s2, v10, 0
	v_add_co_u32_e64 v62, s[0:1], v11, v3
	v_mov_b32_e32 v5, v9
	v_addc_co_u32_e64 v63, s[0:1], v12, v4, s[0:1]
	v_lshlrev_b64 v[3:4], 3, v[6:7]
	v_mad_u64_u32 v[5:6], s[0:1], s3, v10, v[5:6]
	v_add_co_u32_e64 v64, s[0:1], v11, v3
	v_mov_b32_e32 v9, v5
	v_addc_co_u32_e64 v65, s[0:1], v12, v4, s[0:1]
	v_lshlrev_b64 v[3:4], 3, v[8:9]
	v_add_co_u32_e64 v66, s[0:1], v11, v3
	v_addc_co_u32_e64 v67, s[0:1], v12, v4, s[0:1]
	global_load_dwordx2 v[27:28], v[31:32], off
	global_load_dwordx2 v[33:34], v[35:36], off
	;; [unrolled: 1-line block ×15, first 2 shown]
                                        ; kill: killed $vgpr58 killed $vgpr59
                                        ; kill: killed $vgpr48 killed $vgpr49
                                        ; kill: killed $vgpr38 killed $vgpr39
                                        ; kill: killed $vgpr62 killed $vgpr63
                                        ; kill: killed $vgpr52 killed $vgpr53
                                        ; kill: killed $vgpr42 killed $vgpr43
                                        ; kill: killed $vgpr56 killed $vgpr57
                                        ; kill: killed $vgpr46 killed $vgpr47
                                        ; kill: killed $vgpr35 killed $vgpr36
                                        ; kill: killed $vgpr60 killed $vgpr61
                                        ; kill: killed $vgpr50 killed $vgpr51
                                        ; kill: killed $vgpr40 killed $vgpr41
                                        ; kill: killed $vgpr54 killed $vgpr55
                                        ; kill: killed $vgpr44 killed $vgpr45
                                        ; kill: killed $vgpr31 killed $vgpr32
	global_load_dwordx2 v[31:32], v[64:65], off
	global_load_dwordx2 v[35:36], v[66:67], off
.LBB0_11:
	s_or_b64 exec, exec, s[6:7]
	v_mov_b32_e32 v43, v0
.LBB0_12:
	s_or_b64 exec, exec, s[4:5]
	s_mov_b32 s0, 0x88888889
	v_mul_hi_u32 v38, v37, s0
	v_cmp_gt_u32_e64 s[0:1], 7, v0
	v_lshrrev_b32_e32 v38, 3, v38
	v_mul_lo_u32 v38, v38, 15
	v_sub_u32_e32 v37, v37, v38
	v_mul_u32_u24_e32 v37, 0x77, v37
	v_lshlrev_b32_e32 v44, 2, v37
	s_and_saveexec_b64 s[4:5], s[0:1]
	s_cbranch_execz .LBB0_14
; %bb.13:
	s_waitcnt vmcnt(0)
	v_sub_f32_e32 v61, v34, v36
	v_mul_f32_e32 v37, 0xbe3c28d5, v61
	v_sub_f32_e32 v62, v30, v32
	v_add_f32_e32 v53, v33, v35
	v_mov_b32_e32 v38, v37
	v_mul_f32_e32 v39, 0x3eb8f4ab, v62
	v_fmac_f32_e32 v38, 0xbf7ba420, v53
	v_add_f32_e32 v54, v29, v31
	v_mov_b32_e32 v40, v39
	v_sub_f32_e32 v63, v26, v24
	v_add_f32_e32 v38, v27, v38
	v_fmac_f32_e32 v40, 0x3f6eb680, v54
	v_mul_f32_e32 v41, 0xbf06c442, v63
	v_add_f32_e32 v38, v38, v40
	v_add_f32_e32 v55, v25, v23
	v_mov_b32_e32 v40, v41
	v_sub_f32_e32 v64, v22, v20
	v_fmac_f32_e32 v40, 0xbf59a7d5, v55
	v_mul_f32_e32 v42, 0x3f2c7751, v64
	v_add_f32_e32 v38, v38, v40
	v_add_f32_e32 v56, v21, v19
	v_mov_b32_e32 v40, v42
	v_sub_f32_e32 v65, v18, v16
	v_fmac_f32_e32 v40, 0x3f3d2fb0, v56
	v_mul_f32_e32 v45, 0xbf4c4adb, v65
	v_add_f32_e32 v38, v38, v40
	v_add_f32_e32 v58, v17, v15
	v_mov_b32_e32 v40, v45
	v_sub_f32_e32 v66, v14, v12
	v_fmac_f32_e32 v40, 0xbf1a4643, v58
	v_mul_f32_e32 v46, 0x3f65296c, v66
	v_add_f32_e32 v38, v38, v40
	v_add_f32_e32 v57, v13, v11
	v_mov_b32_e32 v40, v46
	v_sub_f32_e32 v67, v10, v8
	v_fmac_f32_e32 v40, 0x3ee437d1, v57
	v_mul_f32_e32 v47, 0xbf763a35, v67
	v_add_f32_e32 v38, v38, v40
	v_add_f32_e32 v59, v9, v7
	v_mov_b32_e32 v40, v47
	v_sub_f32_e32 v68, v6, v4
	v_fmac_f32_e32 v40, 0xbe8c1d8e, v59
	v_mul_f32_e32 v48, 0x3f7ee86f, v68
	s_mov_b32 s6, 0xbf7ba420
	v_add_f32_e32 v38, v38, v40
	v_add_f32_e32 v60, v5, v3
	v_mov_b32_e32 v40, v48
	s_mov_b32 s10, 0x3f6eb680
	v_fmac_f32_e32 v40, 0x3dbcf732, v60
	v_fma_f32 v37, v53, s6, -v37
	s_mov_b32 s7, 0xbf59a7d5
	v_add_f32_e32 v40, v38, v40
	v_add_f32_e32 v37, v27, v37
	v_fma_f32 v38, v54, s10, -v39
	s_mov_b32 s14, 0x3f3d2fb0
	v_add_f32_e32 v37, v37, v38
	v_fma_f32 v38, v55, s7, -v41
	s_mov_b32 s11, 0xbf1a4643
	;; [unrolled: 3-line block ×5, first 2 shown]
	v_add_f32_e32 v37, v37, v38
	v_fma_f32 v38, v59, s16, -v47
	v_add_f32_e32 v37, v37, v38
	v_fma_f32 v38, v60, s17, -v48
	v_add_f32_e32 v41, v37, v38
	v_mul_f32_e32 v38, 0xbf06c442, v61
	v_mov_b32_e32 v37, v38
	v_mul_f32_e32 v39, 0x3f65296c, v62
	v_fmac_f32_e32 v37, 0xbf59a7d5, v53
	v_mov_b32_e32 v42, v39
	v_add_f32_e32 v37, v27, v37
	v_fmac_f32_e32 v42, 0x3ee437d1, v54
	v_add_f32_e32 v37, v37, v42
	v_mul_f32_e32 v42, 0xbf7ee86f, v63
	v_mov_b32_e32 v45, v42
	v_fmac_f32_e32 v45, 0x3dbcf732, v55
	v_add_f32_e32 v37, v37, v45
	v_mul_f32_e32 v45, 0x3f4c4adb, v64
	v_mov_b32_e32 v46, v45
	;; [unrolled: 4-line block ×3, first 2 shown]
	v_fmac_f32_e32 v47, 0x3f6eb680, v58
	v_add_f32_e32 v37, v37, v47
	v_mul_f32_e32 v47, 0xbe3c28d5, v66
	v_fma_f32 v38, v53, s7, -v38
	v_mov_b32_e32 v48, v47
	v_add_f32_e32 v38, v27, v38
	v_fma_f32 v39, v54, s15, -v39
	v_fmac_f32_e32 v48, 0xbf7ba420, v57
	v_add_f32_e32 v38, v38, v39
	v_fma_f32 v39, v55, s17, -v42
	v_add_f32_e32 v37, v37, v48
	v_mul_f32_e32 v48, 0x3f2c7751, v67
	v_add_f32_e32 v38, v38, v39
	v_fma_f32 v39, v56, s11, -v45
	v_mov_b32_e32 v49, v48
	v_add_f32_e32 v38, v38, v39
	v_fma_f32 v39, v58, s10, -v46
	v_fmac_f32_e32 v49, 0x3f3d2fb0, v59
	v_add_f32_e32 v38, v38, v39
	v_fma_f32 v39, v57, s6, -v47
	v_add_f32_e32 v37, v37, v49
	v_mul_f32_e32 v49, 0xbf763a35, v68
	v_add_f32_e32 v38, v38, v39
	v_fma_f32 v39, v59, s14, -v48
	v_add_f32_e32 v38, v38, v39
	v_fma_f32 v39, v60, s16, -v49
	v_add_f32_e32 v46, v38, v39
	v_mul_f32_e32 v39, 0xbf4c4adb, v61
	v_mov_b32_e32 v38, v39
	v_mul_f32_e32 v42, 0x3f763a35, v62
	v_fmac_f32_e32 v38, 0xbf1a4643, v53
	v_mov_b32_e32 v45, v42
	v_add_f32_e32 v38, v27, v38
	v_fmac_f32_e32 v45, 0xbe8c1d8e, v54
	v_add_f32_e32 v38, v38, v45
	v_mul_f32_e32 v45, 0xbeb8f4ab, v63
	v_mov_b32_e32 v47, v45
	v_fmac_f32_e32 v47, 0x3f6eb680, v55
	v_add_f32_e32 v38, v38, v47
	v_mul_f32_e32 v47, 0xbf06c442, v64
	v_mov_b32_e32 v48, v47
	v_fmac_f32_e32 v48, 0xbf59a7d5, v56
	v_add_f32_e32 v38, v38, v48
	v_mul_f32_e32 v48, 0x3f7ee86f, v65
	v_mov_b32_e32 v50, v49
	v_mov_b32_e32 v49, v48
	v_fmac_f32_e32 v49, 0x3dbcf732, v58
	v_fmac_f32_e32 v50, 0xbe8c1d8e, v60
	v_add_f32_e32 v38, v38, v49
	v_mul_f32_e32 v49, 0xbf2c7751, v66
	v_fma_f32 v39, v53, s11, -v39
	v_add_f32_e32 v37, v37, v50
	v_mov_b32_e32 v50, v49
	v_add_f32_e32 v39, v27, v39
	v_fma_f32 v42, v54, s16, -v42
	v_fmac_f32_e32 v50, 0x3f3d2fb0, v57
	v_add_f32_e32 v39, v39, v42
	v_fma_f32 v42, v55, s10, -v45
	v_add_f32_e32 v38, v38, v50
	v_mul_f32_e32 v50, 0xbe3c28d5, v67
	v_add_f32_e32 v39, v39, v42
	v_fma_f32 v42, v56, s7, -v47
	v_mov_b32_e32 v51, v50
	v_add_f32_e32 v39, v39, v42
	v_fma_f32 v42, v58, s17, -v48
	v_fmac_f32_e32 v51, 0xbf7ba420, v59
	v_add_f32_e32 v39, v39, v42
	v_fma_f32 v42, v57, s14, -v49
	v_add_f32_e32 v38, v38, v51
	v_mul_f32_e32 v51, 0x3f65296c, v68
	v_add_f32_e32 v39, v39, v42
	v_fma_f32 v42, v59, s6, -v50
	v_add_f32_e32 v39, v39, v42
	v_fma_f32 v42, v60, s15, -v51
	v_add_f32_e32 v48, v39, v42
	v_mul_f32_e32 v42, 0xbf763a35, v61
	v_mov_b32_e32 v39, v42
	v_mul_f32_e32 v45, 0x3f06c442, v62
	v_fmac_f32_e32 v39, 0xbe8c1d8e, v53
	v_mov_b32_e32 v47, v45
	v_add_f32_e32 v39, v27, v39
	v_fmac_f32_e32 v47, 0xbf59a7d5, v54
	v_add_f32_e32 v39, v39, v47
	v_mul_f32_e32 v47, 0x3f2c7751, v63
	v_mov_b32_e32 v49, v47
	v_fmac_f32_e32 v49, 0x3f3d2fb0, v55
	v_add_f32_e32 v39, v39, v49
	v_mul_f32_e32 v49, 0xbf65296c, v64
	v_mov_b32_e32 v50, v49
	v_fmac_f32_e32 v50, 0x3ee437d1, v56
	v_add_f32_e32 v39, v39, v50
	v_mul_f32_e32 v50, 0xbe3c28d5, v65
	v_mov_b32_e32 v52, v51
	v_mov_b32_e32 v51, v50
	v_fmac_f32_e32 v51, 0xbf7ba420, v58
	v_fmac_f32_e32 v52, 0x3ee437d1, v60
	v_add_f32_e32 v39, v39, v51
	v_mul_f32_e32 v51, 0x3f7ee86f, v66
	v_fma_f32 v42, v53, s16, -v42
	v_add_f32_e32 v38, v38, v52
	;; [unrolled: 48-line block ×4, first 2 shown]
	v_mov_b32_e32 v72, v71
	v_add_f32_e32 v47, v27, v47
	v_fma_f32 v51, v54, s11, -v51
	v_fmac_f32_e32 v72, 0x3f6eb680, v57
	v_add_f32_e32 v47, v47, v51
	v_fma_f32 v51, v55, s6, -v52
	v_add_f32_e32 v45, v45, v72
	v_mul_f32_e32 v72, 0xbf7ee86f, v67
	v_add_f32_e32 v47, v47, v51
	v_fma_f32 v51, v56, s16, -v69
	v_mov_b32_e32 v73, v72
	v_add_f32_e32 v47, v47, v51
	v_fma_f32 v51, v58, s14, -v70
	v_fmac_f32_e32 v73, 0x3dbcf732, v59
	v_add_f32_e32 v47, v47, v51
	v_fma_f32 v51, v57, s10, -v71
	v_add_f32_e32 v45, v45, v73
	v_mul_f32_e32 v73, 0xbf06c442, v68
	v_add_f32_e32 v47, v47, v51
	v_fma_f32 v51, v59, s17, -v72
	v_add_f32_e32 v47, v47, v51
	v_fma_f32 v51, v60, s7, -v73
	v_mul_f32_e32 v52, 0xbf2c7751, v61
	v_add_f32_e32 v51, v47, v51
	v_mov_b32_e32 v47, v52
	v_mul_f32_e32 v69, 0xbf7ee86f, v62
	v_fmac_f32_e32 v47, 0x3f3d2fb0, v53
	v_mov_b32_e32 v70, v69
	v_add_f32_e32 v47, v27, v47
	v_fmac_f32_e32 v70, 0x3dbcf732, v54
	v_add_f32_e32 v47, v47, v70
	v_mul_f32_e32 v70, 0xbf4c4adb, v63
	v_mov_b32_e32 v71, v70
	v_fmac_f32_e32 v71, 0xbf1a4643, v55
	v_add_f32_e32 v47, v47, v71
	v_mul_f32_e32 v71, 0xbe3c28d5, v64
	v_mov_b32_e32 v72, v71
	;; [unrolled: 4-line block ×3, first 2 shown]
	v_mov_b32_e32 v73, v72
	v_fmac_f32_e32 v73, 0xbf59a7d5, v58
	v_fmac_f32_e32 v74, 0xbf59a7d5, v60
	v_add_f32_e32 v47, v47, v73
	v_mul_f32_e32 v73, 0x3f763a35, v66
	v_fma_f32 v52, v53, s14, -v52
	v_add_f32_e32 v45, v45, v74
	v_mov_b32_e32 v74, v73
	v_add_f32_e32 v52, v27, v52
	v_fma_f32 v69, v54, s17, -v69
	v_fmac_f32_e32 v74, 0xbe8c1d8e, v57
	v_add_f32_e32 v52, v52, v69
	v_fma_f32 v69, v55, s11, -v70
	v_add_f32_e32 v47, v47, v74
	v_mul_f32_e32 v74, 0x3f65296c, v67
	v_add_f32_e32 v52, v52, v69
	v_fma_f32 v69, v56, s6, -v71
	v_mov_b32_e32 v75, v74
	v_add_f32_e32 v52, v52, v69
	v_fma_f32 v69, v58, s7, -v72
	v_fmac_f32_e32 v75, 0x3ee437d1, v59
	v_add_f32_e32 v52, v52, v69
	v_fma_f32 v69, v57, s16, -v73
	v_add_f32_e32 v47, v47, v75
	v_mul_f32_e32 v75, 0x3eb8f4ab, v68
	v_add_f32_e32 v52, v52, v69
	v_fma_f32 v69, v59, s15, -v74
	v_add_f32_e32 v52, v52, v69
	v_fma_f32 v69, v60, s10, -v75
	v_add_f32_e32 v52, v52, v69
	v_mul_f32_e32 v69, 0xbeb8f4ab, v61
	v_mov_b32_e32 v61, v69
	v_fmac_f32_e32 v61, 0x3f6eb680, v53
	v_fma_f32 v53, v53, s10, -v69
	v_add_f32_e32 v61, v27, v61
	v_add_f32_e32 v53, v27, v53
	;; [unrolled: 1-line block ×4, first 2 shown]
	v_mul_f32_e32 v62, 0xbf2c7751, v62
	v_add_f32_e32 v27, v27, v25
	v_mov_b32_e32 v70, v62
	v_add_f32_e32 v27, v27, v21
	v_fmac_f32_e32 v70, 0x3f3d2fb0, v54
	v_mul_f32_e32 v63, 0xbf65296c, v63
	v_add_f32_e32 v27, v27, v17
	v_add_f32_e32 v61, v61, v70
	v_mov_b32_e32 v70, v63
	v_add_f32_e32 v27, v27, v13
	v_fmac_f32_e32 v70, 0x3ee437d1, v55
	v_mul_f32_e32 v64, 0xbf7ee86f, v64
	v_add_f32_e32 v27, v27, v9
	v_add_f32_e32 v61, v61, v70
	v_mov_b32_e32 v70, v64
	v_add_f32_e32 v27, v27, v5
	v_fmac_f32_e32 v70, 0x3dbcf732, v56
	v_mul_f32_e32 v65, 0xbf763a35, v65
	v_fma_f32 v54, v54, s14, -v62
	v_add_f32_e32 v27, v27, v3
	v_add_f32_e32 v61, v61, v70
	v_mov_b32_e32 v70, v65
	v_add_f32_e32 v53, v53, v54
	v_fma_f32 v54, v55, s15, -v63
	v_add_f32_e32 v27, v7, v27
	v_fmac_f32_e32 v70, 0xbe8c1d8e, v58
	v_mul_f32_e32 v66, 0xbf4c4adb, v66
	v_add_f32_e32 v53, v53, v54
	v_fma_f32 v54, v56, s17, -v64
	v_add_f32_e32 v27, v11, v27
	v_add_f32_e32 v61, v61, v70
	v_mov_b32_e32 v70, v66
	v_add_f32_e32 v53, v53, v54
	v_fma_f32 v54, v58, s16, -v65
	v_add_f32_e32 v27, v15, v27
	v_fmac_f32_e32 v70, 0xbf1a4643, v57
	v_mul_f32_e32 v67, 0xbf06c442, v67
	v_add_f32_e32 v53, v53, v54
	v_fma_f32 v54, v57, s11, -v66
	v_add_f32_e32 v27, v19, v27
	v_add_f32_e32 v61, v61, v70
	v_mov_b32_e32 v70, v67
	v_mul_f32_e32 v68, 0xbe3c28d5, v68
	v_add_f32_e32 v53, v53, v54
	v_fma_f32 v54, v59, s7, -v67
	v_add_f32_e32 v27, v23, v27
	v_fmac_f32_e32 v70, 0xbf59a7d5, v59
	v_add_f32_e32 v53, v53, v54
	v_fma_f32 v54, v60, s6, -v68
	v_add_f32_e32 v27, v31, v27
	v_mov_b32_e32 v76, v75
	v_add_f32_e32 v61, v61, v70
	v_mov_b32_e32 v70, v68
	v_add_f32_e32 v53, v53, v54
	v_add_f32_e32 v54, v35, v27
	v_mul_u32_u24_e32 v27, 0x44, v0
	v_fmac_f32_e32 v76, 0x3f6eb680, v60
	v_fmac_f32_e32 v70, 0xbf7ba420, v60
	v_add3_u32 v27, 0, v27, v44
	v_add_f32_e32 v47, v47, v76
	v_add_f32_e32 v61, v61, v70
	ds_write2_b32 v27, v54, v53 offset1:1
	ds_write2_b32 v27, v52, v51 offset0:2 offset1:3
	ds_write2_b32 v27, v50, v49 offset0:4 offset1:5
	;; [unrolled: 1-line block ×7, first 2 shown]
	ds_write_b32 v27, v61 offset:64
.LBB0_14:
	s_or_b64 exec, exec, s[4:5]
	v_lshlrev_b32_e32 v37, 2, v0
	v_add_u32_e32 v47, 0, v37
	v_add3_u32 v45, 0, v44, v37
	v_add_u32_e32 v46, v47, v44
	s_waitcnt vmcnt(0) lgkmcnt(0)
	s_barrier
	ds_read_b32 v27, v45
	ds_read2_b32 v[37:38], v46 offset0:17 offset1:34
	ds_read2_b32 v[41:42], v46 offset0:51 offset1:68
	;; [unrolled: 1-line block ×3, first 2 shown]
	s_waitcnt lgkmcnt(0)
	s_barrier
	s_and_saveexec_b64 s[4:5], s[0:1]
	s_cbranch_execz .LBB0_16
; %bb.15:
	v_add_f32_e32 v48, v28, v34
	v_add_f32_e32 v48, v48, v30
	;; [unrolled: 1-line block ×13, first 2 shown]
	v_sub_f32_e32 v33, v33, v35
	v_add_f32_e32 v48, v24, v48
	v_mul_f32_e32 v35, 0xbeb8f4ab, v33
	v_mul_f32_e32 v49, 0xbf2c7751, v33
	;; [unrolled: 1-line block ×8, first 2 shown]
	v_add_f32_e32 v48, v32, v48
	v_add_f32_e32 v34, v34, v36
	s_mov_b32 s10, 0x3f6eb680
	s_mov_b32 s6, 0x3f3d2fb0
	;; [unrolled: 1-line block ×8, first 2 shown]
	v_mov_b32_e32 v61, v33
	v_sub_f32_e32 v29, v29, v31
	v_add_f32_e32 v48, v36, v48
	v_fma_f32 v36, v34, s10, -v35
	v_fmac_f32_e32 v35, 0x3f6eb680, v34
	v_fma_f32 v50, v34, s6, -v49
	v_fmac_f32_e32 v49, 0x3f3d2fb0, v34
	;; [unrolled: 2-line block ×7, first 2 shown]
	v_fmac_f32_e32 v61, 0xbf7ba420, v34
	v_fma_f32 v33, v34, s15, -v33
	v_add_f32_e32 v30, v30, v32
	v_mul_f32_e32 v31, 0xbf2c7751, v29
	v_add_f32_e32 v35, v28, v35
	v_add_f32_e32 v36, v28, v36
	;; [unrolled: 1-line block ×16, first 2 shown]
	v_fma_f32 v32, v30, s6, -v31
	v_fmac_f32_e32 v31, 0x3f3d2fb0, v30
	v_mul_f32_e32 v33, 0xbf7ee86f, v29
	v_add_f32_e32 v31, v35, v31
	v_fma_f32 v34, v30, s0, -v33
	v_fmac_f32_e32 v33, 0x3dbcf732, v30
	v_mul_f32_e32 v35, 0xbf4c4adb, v29
	v_add_f32_e32 v32, v36, v32
	v_add_f32_e32 v33, v49, v33
	v_fma_f32 v36, v30, s11, -v35
	v_fmac_f32_e32 v35, 0xbf1a4643, v30
	v_mul_f32_e32 v49, 0xbe3c28d5, v29
	v_add_f32_e32 v34, v50, v34
	;; [unrolled: 5-line block ×4, first 2 shown]
	v_add_f32_e32 v51, v55, v51
	v_fma_f32 v54, v30, s7, -v53
	v_fmac_f32_e32 v53, 0xbe8c1d8e, v30
	v_mul_f32_e32 v55, 0x3f65296c, v29
	v_mul_f32_e32 v29, 0x3eb8f4ab, v29
	v_sub_f32_e32 v23, v25, v23
	v_add_f32_e32 v53, v57, v53
	v_mov_b32_e32 v57, v29
	v_fma_f32 v29, v30, s10, -v29
	v_add_f32_e32 v24, v26, v24
	v_mul_f32_e32 v25, 0xbf65296c, v23
	v_add_f32_e32 v28, v28, v29
	v_fma_f32 v26, v24, s1, -v25
	v_fmac_f32_e32 v25, 0x3ee437d1, v24
	v_mul_f32_e32 v29, 0xbf4c4adb, v23
	v_add_f32_e32 v52, v56, v52
	v_fma_f32 v56, v30, s1, -v55
	v_fmac_f32_e32 v55, 0x3ee437d1, v30
	v_fmac_f32_e32 v57, 0x3f6eb680, v30
	v_add_f32_e32 v25, v31, v25
	v_fma_f32 v30, v24, s11, -v29
	v_fmac_f32_e32 v29, 0xbf1a4643, v24
	v_mul_f32_e32 v31, 0x3e3c28d5, v23
	v_add_f32_e32 v26, v32, v26
	v_add_f32_e32 v29, v33, v29
	v_fma_f32 v32, v24, s15, -v31
	v_fmac_f32_e32 v31, 0xbf7ba420, v24
	v_mul_f32_e32 v33, 0x3f763a35, v23
	v_add_f32_e32 v30, v34, v30
	v_add_f32_e32 v31, v35, v31
	v_fma_f32 v34, v24, s7, -v33
	v_fmac_f32_e32 v33, 0xbe8c1d8e, v24
	v_mul_f32_e32 v35, 0x3f2c7751, v23
	v_add_f32_e32 v32, v36, v32
	v_add_f32_e32 v33, v49, v33
	v_fma_f32 v36, v24, s6, -v35
	v_fmac_f32_e32 v35, 0x3f3d2fb0, v24
	v_mul_f32_e32 v49, 0xbeb8f4ab, v23
	v_add_f32_e32 v34, v50, v34
	v_add_f32_e32 v35, v51, v35
	v_fma_f32 v50, v24, s10, -v49
	v_fmac_f32_e32 v49, 0x3f6eb680, v24
	v_mul_f32_e32 v51, 0xbf7ee86f, v23
	v_mul_f32_e32 v23, 0xbf06c442, v23
	v_sub_f32_e32 v19, v21, v19
	v_add_f32_e32 v49, v53, v49
	v_mov_b32_e32 v53, v23
	v_add_f32_e32 v20, v22, v20
	v_mul_f32_e32 v21, 0xbf7ee86f, v19
	v_add_f32_e32 v36, v52, v36
	v_fma_f32 v52, v24, s0, -v51
	v_fmac_f32_e32 v51, 0x3dbcf732, v24
	v_fmac_f32_e32 v53, 0xbf59a7d5, v24
	v_fma_f32 v23, v24, s14, -v23
	v_fma_f32 v22, v20, s0, -v21
	v_fmac_f32_e32 v21, 0x3dbcf732, v20
	v_mul_f32_e32 v24, 0xbe3c28d5, v19
	v_add_f32_e32 v21, v25, v21
	v_add_f32_e32 v22, v26, v22
	v_fma_f32 v25, v20, s15, -v24
	v_fmac_f32_e32 v24, 0xbf7ba420, v20
	v_mul_f32_e32 v26, 0x3f763a35, v19
	v_add_f32_e32 v23, v28, v23
	v_add_f32_e32 v24, v29, v24
	v_fma_f32 v28, v20, s7, -v26
	v_fmac_f32_e32 v26, 0xbe8c1d8e, v20
	v_mul_f32_e32 v29, 0x3eb8f4ab, v19
	v_add_f32_e32 v25, v30, v25
	v_add_f32_e32 v26, v31, v26
	v_fma_f32 v30, v20, s10, -v29
	v_fmac_f32_e32 v29, 0x3f6eb680, v20
	v_mul_f32_e32 v31, 0xbf65296c, v19
	v_add_f32_e32 v28, v32, v28
	v_add_f32_e32 v29, v33, v29
	v_fma_f32 v32, v20, s1, -v31
	v_fmac_f32_e32 v31, 0x3ee437d1, v20
	v_mul_f32_e32 v33, 0xbf06c442, v19
	v_add_f32_e32 v30, v34, v30
	v_add_f32_e32 v31, v35, v31
	v_fma_f32 v34, v20, s14, -v33
	v_fmac_f32_e32 v33, 0xbf59a7d5, v20
	v_mul_f32_e32 v35, 0x3f4c4adb, v19
	v_mul_f32_e32 v19, 0x3f2c7751, v19
	v_sub_f32_e32 v15, v17, v15
	v_add_f32_e32 v33, v49, v33
	v_mov_b32_e32 v49, v19
	v_add_f32_e32 v16, v18, v16
	v_mul_f32_e32 v17, 0xbf763a35, v15
	v_add_f32_e32 v32, v36, v32
	v_fma_f32 v36, v20, s11, -v35
	v_fmac_f32_e32 v35, 0xbf1a4643, v20
	v_fmac_f32_e32 v49, 0x3f3d2fb0, v20
	v_fma_f32 v19, v20, s6, -v19
	v_fma_f32 v18, v16, s7, -v17
	v_fmac_f32_e32 v17, 0xbe8c1d8e, v16
	v_mul_f32_e32 v20, 0x3f06c442, v15
	v_add_f32_e32 v17, v21, v17
	;; [unrolled: 39-line block ×5, first 2 shown]
	v_add_f32_e32 v6, v10, v6
	v_fma_f32 v9, v4, s10, -v8
	v_fmac_f32_e32 v8, 0x3f6eb680, v4
	v_mul_f32_e32 v10, 0xbf06c442, v3
	v_add_f32_e32 v7, v11, v7
	v_add_f32_e32 v8, v12, v8
	v_fma_f32 v11, v4, s14, -v10
	v_fmac_f32_e32 v10, 0xbf59a7d5, v4
	v_mul_f32_e32 v12, 0x3f2c7751, v3
	v_add_f32_e32 v54, v58, v54
	v_add_f32_e32 v55, v59, v55
	v_add_f32_e32 v56, v60, v56
	v_add_f32_e32 v57, v61, v57
	v_add_f32_e32 v9, v13, v9
	v_add_f32_e32 v10, v14, v10
	v_fma_f32 v13, v4, s6, -v12
	v_fmac_f32_e32 v12, 0x3f3d2fb0, v4
	v_mul_f32_e32 v14, 0xbf4c4adb, v3
	v_add_f32_e32 v50, v54, v50
	v_add_f32_e32 v51, v55, v51
	v_add_f32_e32 v52, v56, v52
	v_add_f32_e32 v53, v57, v53
	;; [unrolled: 9-line block ×3, first 2 shown]
	v_add_f32_e32 v13, v17, v13
	v_add_f32_e32 v14, v18, v14
	v_fma_f32 v17, v4, s1, -v16
	v_fmac_f32_e32 v16, 0x3ee437d1, v4
	v_mul_f32_e32 v18, 0xbf763a35, v3
	v_mul_f32_e32 v3, 0x3f7ee86f, v3
	v_add_f32_e32 v30, v34, v30
	v_add_f32_e32 v31, v35, v31
	;; [unrolled: 1-line block ×5, first 2 shown]
	v_mov_b32_e32 v20, v3
	v_add_f32_e32 v25, v30, v25
	v_add_f32_e32 v26, v31, v26
	;; [unrolled: 1-line block ×5, first 2 shown]
	v_fma_f32 v19, v4, s7, -v18
	v_fmac_f32_e32 v18, 0xbe8c1d8e, v4
	v_fmac_f32_e32 v20, 0x3dbcf732, v4
	v_fma_f32 v3, v4, s0, -v3
	v_lshlrev_b32_e32 v4, 6, v0
	v_add_f32_e32 v21, v25, v21
	v_add_f32_e32 v22, v26, v22
	;; [unrolled: 1-line block ×4, first 2 shown]
	v_add3_u32 v4, v47, v4, v44
	v_add_f32_e32 v17, v21, v17
	v_add_f32_e32 v18, v22, v18
	;; [unrolled: 1-line block ×5, first 2 shown]
	ds_write2_b32 v4, v48, v5 offset1:1
	ds_write2_b32 v4, v8, v10 offset0:2 offset1:3
	ds_write2_b32 v4, v12, v14 offset0:4 offset1:5
	;; [unrolled: 1-line block ×7, first 2 shown]
	ds_write_b32 v4, v6 offset:64
.LBB0_16:
	s_or_b64 exec, exec, s[4:5]
	s_waitcnt lgkmcnt(0)
	s_barrier
	s_and_saveexec_b64 s[0:1], vcc
	s_cbranch_execz .LBB0_18
; %bb.17:
	v_mul_u32_u24_e32 v0, 6, v0
	v_lshlrev_b32_e32 v0, 3, v0
	global_load_dwordx4 v[3:6], v0, s[8:9]
	global_load_dwordx4 v[7:10], v0, s[8:9] offset:32
	global_load_dwordx4 v[11:14], v0, s[8:9] offset:16
	ds_read2_b32 v[15:16], v46 offset0:17 offset1:34
	ds_read2_b32 v[17:18], v46 offset0:85 offset1:102
	ds_read2_b32 v[19:20], v46 offset0:51 offset1:68
	ds_read_b32 v0, v45
	s_mov_b32 s4, 0xbf3bfb3b
	s_mov_b32 s1, 0xbeae86e6
	;; [unrolled: 1-line block ×3, first 2 shown]
	s_waitcnt vmcnt(2) lgkmcnt(3)
	v_mul_f32_e32 v21, v15, v4
	s_waitcnt vmcnt(1) lgkmcnt(2)
	v_mul_f32_e32 v22, v18, v10
	;; [unrolled: 2-line block ×3, first 2 shown]
	v_mul_f32_e32 v24, v19, v12
	v_mul_f32_e32 v25, v16, v6
	;; [unrolled: 1-line block ×9, first 2 shown]
	v_fma_f32 v21, v37, v3, -v21
	v_fma_f32 v22, v40, v9, -v22
	;; [unrolled: 1-line block ×6, first 2 shown]
	v_fmac_f32_e32 v10, v9, v18
	v_fmac_f32_e32 v4, v3, v15
	;; [unrolled: 1-line block ×6, first 2 shown]
	v_sub_f32_e32 v3, v21, v22
	v_sub_f32_e32 v5, v23, v24
	;; [unrolled: 1-line block ×3, first 2 shown]
	v_add_f32_e32 v9, v4, v10
	v_add_f32_e32 v13, v6, v8
	;; [unrolled: 1-line block ×6, first 2 shown]
	v_sub_f32_e32 v10, v4, v10
	v_sub_f32_e32 v4, v14, v12
	;; [unrolled: 1-line block ×5, first 2 shown]
	v_add_f32_e32 v5, v5, v7
	v_add_f32_e32 v19, v9, v13
	v_sub_f32_e32 v21, v16, v17
	v_add_f32_e32 v22, v15, v17
	v_sub_f32_e32 v23, v10, v4
	v_sub_f32_e32 v24, v4, v12
	v_add_f32_e32 v4, v4, v12
	v_mul_f32_e32 v26, 0xbf08b237, v8
	v_add_f32_e32 v28, v3, v5
	v_add_f32_e32 v5, v11, v19
	v_mul_f32_e32 v19, 0x3d64c772, v21
	v_add_f32_e32 v8, v16, v22
	v_sub_f32_e32 v18, v11, v13
	v_sub_f32_e32 v20, v15, v16
	;; [unrolled: 1-line block ×3, first 2 shown]
	v_add_f32_e32 v21, v10, v4
	s_waitcnt lgkmcnt(0)
	v_add_f32_e32 v4, v0, v5
	v_mov_b32_e32 v0, v19
	v_add_f32_e32 v3, v27, v8
	v_sub_f32_e32 v14, v9, v11
	v_mul_f32_e32 v18, 0x3d64c772, v18
	v_mul_f32_e32 v11, 0x3f4a47b2, v20
	v_fmac_f32_e32 v0, 0x3f4a47b2, v20
	v_mov_b32_e32 v20, v3
	v_mov_b32_e32 v29, v18
	v_fmac_f32_e32 v20, 0xbf955555, v8
	v_mul_f32_e32 v7, 0x3f4a47b2, v14
	v_fmac_f32_e32 v29, 0x3f4a47b2, v14
	v_mov_b32_e32 v14, v4
	v_add_f32_e32 v30, v0, v20
	v_sub_f32_e32 v0, v13, v9
	v_fmac_f32_e32 v14, 0xbf955555, v5
	v_fma_f32 v7, v0, s4, -v7
	v_sub_f32_e32 v9, v17, v15
	v_mul_f32_e32 v16, 0xbf08b237, v24
	v_add_f32_e32 v31, v7, v14
	v_fma_f32 v7, v9, s4, -v11
	v_sub_f32_e32 v11, v12, v10
	v_mul_f32_e32 v22, 0x3f5ff5aa, v25
	v_mov_b32_e32 v27, v16
	v_add_f32_e32 v15, v7, v20
	v_mul_f32_e32 v7, 0x3f5ff5aa, v11
	v_fma_f32 v22, v6, s1, -v22
	v_fmac_f32_e32 v27, 0x3eae86e6, v23
	v_fma_f32 v23, v23, s1, -v7
	s_mov_b32 s1, 0x3f3bfb3b
	v_fma_f32 v0, v0, s1, -v18
	v_fma_f32 v13, v25, s0, -v26
	v_fma_f32 v16, v11, s0, -v16
	v_fma_f32 v9, v9, s1, -v19
	v_mad_u64_u32 v[11:12], s[0:1], s2, v43, 0
	v_add_f32_e32 v0, v0, v14
	v_fmac_f32_e32 v13, 0x3ee1c552, v28
	v_add_f32_e32 v29, v29, v14
	v_sub_f32_e32 v10, v0, v13
	v_fmac_f32_e32 v16, 0x3ee1c552, v21
	v_add_f32_e32 v17, v9, v20
	v_add_f32_e32 v14, v13, v0
	v_mov_b32_e32 v0, v12
	v_add_f32_e32 v9, v16, v17
	v_sub_f32_e32 v13, v17, v16
	v_mad_u64_u32 v[17:18], s[0:1], s3, v43, v[0:1]
	v_lshlrev_b64 v[0:1], 3, v[1:2]
	v_fmac_f32_e32 v23, 0x3ee1c552, v21
	v_mov_b32_e32 v12, v17
	v_mov_b32_e32 v2, s13
	v_add_co_u32_e32 v17, vcc, s12, v0
	v_add_u32_e32 v20, 17, v43
	v_sub_f32_e32 v7, v15, v23
	v_add_f32_e32 v15, v23, v15
	v_addc_co_u32_e32 v23, vcc, v2, v1, vcc
	v_lshlrev_b64 v[0:1], 3, v[11:12]
	v_mad_u64_u32 v[11:12], s[0:1], s2, v20, 0
	v_mov_b32_e32 v24, v26
	v_fmac_f32_e32 v24, 0x3eae86e6, v6
	v_fmac_f32_e32 v24, 0x3ee1c552, v28
	v_mov_b32_e32 v2, v12
	v_fmac_f32_e32 v27, 0x3ee1c552, v21
	v_add_f32_e32 v6, v24, v29
	v_fmac_f32_e32 v22, 0x3ee1c552, v28
	v_sub_f32_e32 v19, v29, v24
	v_mad_u64_u32 v[20:21], s[0:1], s3, v20, v[2:3]
	v_add_u32_e32 v24, 34, v43
	v_add_f32_e32 v8, v22, v31
	v_sub_f32_e32 v16, v31, v22
	v_mad_u64_u32 v[21:22], s[0:1], s2, v24, 0
	v_add_co_u32_e32 v0, vcc, v17, v0
	v_addc_co_u32_e32 v1, vcc, v23, v1, vcc
	v_mov_b32_e32 v2, v22
	global_store_dwordx2 v[0:1], v[3:4], off
	v_mad_u64_u32 v[2:3], s[0:1], s3, v24, v[2:3]
	v_add_u32_e32 v4, 51, v43
	v_mov_b32_e32 v12, v20
	v_mov_b32_e32 v22, v2
	v_mad_u64_u32 v[2:3], s[0:1], s2, v4, 0
	v_lshlrev_b64 v[0:1], 3, v[11:12]
	v_add_f32_e32 v18, v27, v30
	v_add_co_u32_e32 v0, vcc, v17, v0
	v_mad_u64_u32 v[3:4], s[0:1], s3, v4, v[3:4]
	v_addc_co_u32_e32 v1, vcc, v23, v1, vcc
	v_add_u32_e32 v4, 0x44, v43
	global_store_dwordx2 v[0:1], v[18:19], off
	v_lshlrev_b64 v[0:1], 3, v[21:22]
	v_mad_u64_u32 v[11:12], s[0:1], s2, v4, 0
	v_add_co_u32_e32 v0, vcc, v17, v0
	v_addc_co_u32_e32 v1, vcc, v23, v1, vcc
	global_store_dwordx2 v[0:1], v[15:16], off
	v_lshlrev_b64 v[0:1], 3, v[2:3]
	v_mov_b32_e32 v2, v12
	v_mad_u64_u32 v[2:3], s[0:1], s3, v4, v[2:3]
	v_add_u32_e32 v4, 0x55, v43
	v_add_co_u32_e32 v0, vcc, v17, v0
	v_mov_b32_e32 v12, v2
	v_mad_u64_u32 v[2:3], s[0:1], s2, v4, 0
	v_addc_co_u32_e32 v1, vcc, v23, v1, vcc
	v_mad_u64_u32 v[3:4], s[0:1], s3, v4, v[3:4]
	v_add_u32_e32 v4, 0x66, v43
	global_store_dwordx2 v[0:1], v[13:14], off
	v_lshlrev_b64 v[0:1], 3, v[11:12]
	v_mad_u64_u32 v[11:12], s[0:1], s2, v4, 0
	v_add_co_u32_e32 v0, vcc, v17, v0
	v_addc_co_u32_e32 v1, vcc, v23, v1, vcc
	global_store_dwordx2 v[0:1], v[9:10], off
	v_lshlrev_b64 v[0:1], 3, v[2:3]
	v_mov_b32_e32 v2, v12
	v_mad_u64_u32 v[2:3], s[0:1], s3, v4, v[2:3]
	v_add_co_u32_e32 v0, vcc, v17, v0
	v_addc_co_u32_e32 v1, vcc, v23, v1, vcc
	v_mov_b32_e32 v12, v2
	global_store_dwordx2 v[0:1], v[7:8], off
	v_lshlrev_b64 v[0:1], 3, v[11:12]
	v_sub_f32_e32 v5, v30, v27
	v_add_co_u32_e32 v0, vcc, v17, v0
	v_addc_co_u32_e32 v1, vcc, v23, v1, vcc
	global_store_dwordx2 v[0:1], v[5:6], off
.LBB0_18:
	s_endpgm
	.section	.rodata,"a",@progbits
	.p2align	6, 0x0
	.amdhsa_kernel fft_rtc_fwd_len119_factors_17_7_wgs_255_tpt_17_halfLds_sp_ip_CI_sbrr_dirReg
		.amdhsa_group_segment_fixed_size 0
		.amdhsa_private_segment_fixed_size 0
		.amdhsa_kernarg_size 88
		.amdhsa_user_sgpr_count 6
		.amdhsa_user_sgpr_private_segment_buffer 1
		.amdhsa_user_sgpr_dispatch_ptr 0
		.amdhsa_user_sgpr_queue_ptr 0
		.amdhsa_user_sgpr_kernarg_segment_ptr 1
		.amdhsa_user_sgpr_dispatch_id 0
		.amdhsa_user_sgpr_flat_scratch_init 0
		.amdhsa_user_sgpr_private_segment_size 0
		.amdhsa_uses_dynamic_stack 0
		.amdhsa_system_sgpr_private_segment_wavefront_offset 0
		.amdhsa_system_sgpr_workgroup_id_x 1
		.amdhsa_system_sgpr_workgroup_id_y 0
		.amdhsa_system_sgpr_workgroup_id_z 0
		.amdhsa_system_sgpr_workgroup_info 0
		.amdhsa_system_vgpr_workitem_id 0
		.amdhsa_next_free_vgpr 77
		.amdhsa_next_free_sgpr 24
		.amdhsa_reserve_vcc 1
		.amdhsa_reserve_flat_scratch 0
		.amdhsa_float_round_mode_32 0
		.amdhsa_float_round_mode_16_64 0
		.amdhsa_float_denorm_mode_32 3
		.amdhsa_float_denorm_mode_16_64 3
		.amdhsa_dx10_clamp 1
		.amdhsa_ieee_mode 1
		.amdhsa_fp16_overflow 0
		.amdhsa_exception_fp_ieee_invalid_op 0
		.amdhsa_exception_fp_denorm_src 0
		.amdhsa_exception_fp_ieee_div_zero 0
		.amdhsa_exception_fp_ieee_overflow 0
		.amdhsa_exception_fp_ieee_underflow 0
		.amdhsa_exception_fp_ieee_inexact 0
		.amdhsa_exception_int_div_zero 0
	.end_amdhsa_kernel
	.text
.Lfunc_end0:
	.size	fft_rtc_fwd_len119_factors_17_7_wgs_255_tpt_17_halfLds_sp_ip_CI_sbrr_dirReg, .Lfunc_end0-fft_rtc_fwd_len119_factors_17_7_wgs_255_tpt_17_halfLds_sp_ip_CI_sbrr_dirReg
                                        ; -- End function
	.section	.AMDGPU.csdata,"",@progbits
; Kernel info:
; codeLenInByte = 8388
; NumSgprs: 28
; NumVgprs: 77
; ScratchSize: 0
; MemoryBound: 0
; FloatMode: 240
; IeeeMode: 1
; LDSByteSize: 0 bytes/workgroup (compile time only)
; SGPRBlocks: 3
; VGPRBlocks: 19
; NumSGPRsForWavesPerEU: 28
; NumVGPRsForWavesPerEU: 77
; Occupancy: 3
; WaveLimiterHint : 1
; COMPUTE_PGM_RSRC2:SCRATCH_EN: 0
; COMPUTE_PGM_RSRC2:USER_SGPR: 6
; COMPUTE_PGM_RSRC2:TRAP_HANDLER: 0
; COMPUTE_PGM_RSRC2:TGID_X_EN: 1
; COMPUTE_PGM_RSRC2:TGID_Y_EN: 0
; COMPUTE_PGM_RSRC2:TGID_Z_EN: 0
; COMPUTE_PGM_RSRC2:TIDIG_COMP_CNT: 0
	.type	__hip_cuid_d2efc6300d9d3c17,@object ; @__hip_cuid_d2efc6300d9d3c17
	.section	.bss,"aw",@nobits
	.globl	__hip_cuid_d2efc6300d9d3c17
__hip_cuid_d2efc6300d9d3c17:
	.byte	0                               ; 0x0
	.size	__hip_cuid_d2efc6300d9d3c17, 1

	.ident	"AMD clang version 19.0.0git (https://github.com/RadeonOpenCompute/llvm-project roc-6.4.0 25133 c7fe45cf4b819c5991fe208aaa96edf142730f1d)"
	.section	".note.GNU-stack","",@progbits
	.addrsig
	.addrsig_sym __hip_cuid_d2efc6300d9d3c17
	.amdgpu_metadata
---
amdhsa.kernels:
  - .args:
      - .actual_access:  read_only
        .address_space:  global
        .offset:         0
        .size:           8
        .value_kind:     global_buffer
      - .offset:         8
        .size:           8
        .value_kind:     by_value
      - .actual_access:  read_only
        .address_space:  global
        .offset:         16
        .size:           8
        .value_kind:     global_buffer
      - .actual_access:  read_only
        .address_space:  global
        .offset:         24
        .size:           8
        .value_kind:     global_buffer
      - .offset:         32
        .size:           8
        .value_kind:     by_value
      - .actual_access:  read_only
        .address_space:  global
        .offset:         40
        .size:           8
        .value_kind:     global_buffer
      - .actual_access:  read_only
        .address_space:  global
        .offset:         48
        .size:           8
        .value_kind:     global_buffer
      - .offset:         56
        .size:           4
        .value_kind:     by_value
      - .actual_access:  read_only
        .address_space:  global
        .offset:         64
        .size:           8
        .value_kind:     global_buffer
      - .actual_access:  read_only
        .address_space:  global
        .offset:         72
        .size:           8
        .value_kind:     global_buffer
      - .address_space:  global
        .offset:         80
        .size:           8
        .value_kind:     global_buffer
    .group_segment_fixed_size: 0
    .kernarg_segment_align: 8
    .kernarg_segment_size: 88
    .language:       OpenCL C
    .language_version:
      - 2
      - 0
    .max_flat_workgroup_size: 255
    .name:           fft_rtc_fwd_len119_factors_17_7_wgs_255_tpt_17_halfLds_sp_ip_CI_sbrr_dirReg
    .private_segment_fixed_size: 0
    .sgpr_count:     28
    .sgpr_spill_count: 0
    .symbol:         fft_rtc_fwd_len119_factors_17_7_wgs_255_tpt_17_halfLds_sp_ip_CI_sbrr_dirReg.kd
    .uniform_work_group_size: 1
    .uses_dynamic_stack: false
    .vgpr_count:     77
    .vgpr_spill_count: 0
    .wavefront_size: 64
amdhsa.target:   amdgcn-amd-amdhsa--gfx906
amdhsa.version:
  - 1
  - 2
...

	.end_amdgpu_metadata
